;; amdgpu-corpus repo=ROCm/rocFFT kind=compiled arch=gfx1201 opt=O3
	.text
	.amdgcn_target "amdgcn-amd-amdhsa--gfx1201"
	.amdhsa_code_object_version 6
	.protected	bluestein_single_fwd_len44_dim1_dp_op_CI_CI ; -- Begin function bluestein_single_fwd_len44_dim1_dp_op_CI_CI
	.globl	bluestein_single_fwd_len44_dim1_dp_op_CI_CI
	.p2align	8
	.type	bluestein_single_fwd_len44_dim1_dp_op_CI_CI,@function
bluestein_single_fwd_len44_dim1_dp_op_CI_CI: ; @bluestein_single_fwd_len44_dim1_dp_op_CI_CI
; %bb.0:
	s_load_b128 s[16:19], s[0:1], 0x28
	v_lshrrev_b32_e32 v44, 2, v0
	v_mov_b32_e32 v129, 0
	s_mov_b32 s2, exec_lo
	s_delay_alu instid0(VALU_DEP_2) | instskip(SKIP_1) | instid1(VALU_DEP_1)
	v_lshl_or_b32 v128, ttmp9, 4, v44
	s_wait_kmcnt 0x0
	v_cmpx_gt_u64_e64 s[16:17], v[128:129]
	s_cbranch_execz .LBB0_10
; %bb.1:
	s_clause 0x1
	s_load_b128 s[4:7], s[0:1], 0x18
	s_load_b128 s[8:11], s[0:1], 0x0
	v_and_b32_e32 v131, 3, v0
	s_mov_b32 s26, 0xf8bb580b
	s_mov_b32 s27, 0xbfe14ced
	;; [unrolled: 1-line block ×17, first 2 shown]
	s_wait_kmcnt 0x0
	s_load_b128 s[12:15], s[4:5], 0x0
	s_mov_b32 s30, s26
	s_wait_kmcnt 0x0
	v_mad_co_u64_u32 v[8:9], null, s12, v131, 0
	v_mad_co_u64_u32 v[0:1], null, s14, v128, 0
	s_lshl_b64 s[2:3], s[12:13], 6
	s_delay_alu instid0(VALU_DEP_2) | instskip(SKIP_1) | instid1(VALU_DEP_2)
	v_mov_b32_e32 v2, v9
	v_lshlrev_b32_e32 v134, 4, v131
	v_mad_co_u64_u32 v[3:4], null, s15, v128, v[1:2]
	s_mov_b32 s14, 0x640f44db
	s_mov_b32 s15, 0xbfc2375f
	s_delay_alu instid0(VALU_DEP_1) | instskip(SKIP_3) | instid1(VALU_DEP_1)
	v_mad_co_u64_u32 v[4:5], null, s13, v131, v[2:3]
	v_mov_b32_e32 v1, v3
	s_mov_b32 s12, 0xd9c712b6
	s_mov_b32 s13, 0x3fda9628
	v_lshlrev_b64_e32 v[10:11], 4, v[0:1]
	s_delay_alu instid0(VALU_DEP_3)
	v_mov_b32_e32 v9, v4
	s_clause 0x1
	global_load_b128 v[0:3], v134, s[8:9]
	global_load_b128 v[4:7], v134, s[8:9] offset:64
	v_add_co_u32 v18, vcc_lo, s18, v10
	v_lshlrev_b64_e32 v[16:17], 4, v[8:9]
	v_add_co_ci_u32_e32 v19, vcc_lo, s19, v11, vcc_lo
	s_clause 0x1
	global_load_b128 v[8:11], v134, s[8:9] offset:128
	global_load_b128 v[12:15], v134, s[8:9] offset:192
	s_mov_b32 s19, 0xbfed1bb4
	s_mov_b32 s18, 0x8eee2c13
	v_add_co_u32 v32, vcc_lo, v18, v16
	s_wait_alu 0xfffd
	v_add_co_ci_u32_e32 v33, vcc_lo, v19, v17, vcc_lo
	s_clause 0x1
	global_load_b128 v[16:19], v134, s[8:9] offset:256
	global_load_b128 v[20:23], v134, s[8:9] offset:320
	v_add_co_u32 v34, vcc_lo, v32, s2
	s_wait_alu 0xfffd
	v_add_co_ci_u32_e32 v35, vcc_lo, s3, v33, vcc_lo
	s_clause 0x1
	global_load_b128 v[24:27], v134, s[8:9] offset:384
	global_load_b128 v[28:31], v134, s[8:9] offset:448
	v_add_co_u32 v36, vcc_lo, v34, s2
	s_wait_alu 0xfffd
	v_add_co_ci_u32_e32 v37, vcc_lo, s3, v35, vcc_lo
	global_load_b128 v[45:48], v[32:33], off
	v_add_co_u32 v38, vcc_lo, v36, s2
	s_wait_alu 0xfffd
	v_add_co_ci_u32_e32 v39, vcc_lo, s3, v37, vcc_lo
	s_clause 0x1
	global_load_b128 v[49:52], v[34:35], off
	global_load_b128 v[53:56], v[36:37], off
	v_add_co_u32 v32, vcc_lo, v38, s2
	s_wait_alu 0xfffd
	v_add_co_ci_u32_e32 v33, vcc_lo, s3, v39, vcc_lo
	s_clause 0x1
	global_load_b128 v[57:60], v[38:39], off
	global_load_b128 v[61:64], v[32:33], off
	v_add_co_u32 v34, vcc_lo, v32, s2
	s_wait_alu 0xfffd
	v_add_co_ci_u32_e32 v35, vcc_lo, s3, v33, vcc_lo
	s_delay_alu instid0(VALU_DEP_2) | instskip(SKIP_1) | instid1(VALU_DEP_2)
	v_add_co_u32 v32, vcc_lo, v34, s2
	s_wait_alu 0xfffd
	v_add_co_ci_u32_e32 v33, vcc_lo, s3, v35, vcc_lo
	global_load_b128 v[65:68], v[34:35], off
	v_add_co_u32 v34, vcc_lo, v32, s2
	s_wait_alu 0xfffd
	v_add_co_ci_u32_e32 v35, vcc_lo, s3, v33, vcc_lo
	global_load_b128 v[69:72], v[32:33], off
	;; [unrolled: 4-line block ×4, first 2 shown]
	v_add_co_u32 v85, vcc_lo, v40, s2
	s_wait_alu 0xfffd
	v_add_co_ci_u32_e32 v86, vcc_lo, s3, v41, vcc_lo
	s_clause 0x1
	global_load_b128 v[36:39], v134, s[8:9] offset:512
	global_load_b128 v[32:35], v134, s[8:9] offset:576
	global_load_b128 v[81:84], v[40:41], off
	global_load_b128 v[40:43], v134, s[8:9] offset:640
	global_load_b128 v[85:88], v[85:86], off
	s_load_b128 s[4:7], s[6:7], 0x0
	s_mov_b32 s2, 0x8764f0ba
	s_mov_b32 s3, 0x3feaeb8c
	v_cmp_ne_u32_e32 vcc_lo, 3, v131
	s_wait_loadcnt 0xd
	v_mul_f64_e32 v[89:90], v[47:48], v[2:3]
	v_mul_f64_e32 v[91:92], v[45:46], v[2:3]
	s_wait_loadcnt 0xc
	v_mul_f64_e32 v[93:94], v[51:52], v[6:7]
	v_mul_f64_e32 v[95:96], v[49:50], v[6:7]
	s_wait_loadcnt 0xb
	v_mul_f64_e32 v[97:98], v[55:56], v[10:11]
	v_mul_f64_e32 v[99:100], v[53:54], v[10:11]
	s_wait_loadcnt 0xa
	v_mul_f64_e32 v[101:102], v[59:60], v[14:15]
	v_mul_f64_e32 v[103:104], v[57:58], v[14:15]
	s_wait_loadcnt 0x9
	v_mul_f64_e32 v[105:106], v[63:64], v[18:19]
	v_mul_f64_e32 v[107:108], v[61:62], v[18:19]
	s_wait_loadcnt 0x8
	v_mul_f64_e32 v[109:110], v[67:68], v[22:23]
	v_mul_f64_e32 v[111:112], v[65:66], v[22:23]
	s_wait_loadcnt 0x7
	v_mul_f64_e32 v[113:114], v[71:72], v[26:27]
	v_mul_f64_e32 v[115:116], v[69:70], v[26:27]
	s_wait_loadcnt 0x6
	v_mul_f64_e32 v[117:118], v[75:76], v[30:31]
	v_mul_f64_e32 v[119:120], v[73:74], v[30:31]
	s_wait_loadcnt 0x4
	v_mul_f64_e32 v[121:122], v[79:80], v[38:39]
	v_mul_f64_e32 v[123:124], v[77:78], v[38:39]
	s_wait_loadcnt 0x2
	v_mul_f64_e32 v[125:126], v[83:84], v[34:35]
	v_mul_f64_e32 v[129:130], v[81:82], v[34:35]
	s_wait_loadcnt 0x0
	v_mul_f64_e32 v[132:133], v[87:88], v[42:43]
	v_mul_f64_e32 v[135:136], v[85:86], v[42:43]
	v_fma_f64 v[45:46], v[45:46], v[0:1], v[89:90]
	v_fma_f64 v[47:48], v[47:48], v[0:1], -v[91:92]
	v_fma_f64 v[49:50], v[49:50], v[4:5], v[93:94]
	v_fma_f64 v[51:52], v[51:52], v[4:5], -v[95:96]
	;; [unrolled: 2-line block ×11, first 2 shown]
	v_mul_u32_u24_e32 v136, 44, v44
	s_delay_alu instid0(VALU_DEP_1) | instskip(SKIP_1) | instid1(VALU_DEP_2)
	v_or_b32_e32 v44, v136, v131
	v_lshl_or_b32 v132, v136, 4, v134
	v_lshlrev_b32_e32 v133, 4, v44
	ds_store_b128 v133, v[45:48]
	ds_store_b128 v132, v[49:52] offset:64
	ds_store_b128 v132, v[53:56] offset:128
	;; [unrolled: 1-line block ×10, first 2 shown]
	global_wb scope:SCOPE_SE
	s_wait_dscnt 0x0
	s_wait_kmcnt 0x0
	s_barrier_signal -1
	s_barrier_wait -1
	global_inv scope:SCOPE_SE
	ds_load_b128 v[52:55], v133
	ds_load_b128 v[60:63], v132 offset:64
	ds_load_b128 v[44:47], v132 offset:640
	ds_load_b128 v[64:67], v132 offset:128
	ds_load_b128 v[56:59], v132 offset:512
	ds_load_b128 v[48:51], v132 offset:576
	ds_load_b128 v[68:71], v132 offset:192
	ds_load_b128 v[72:75], v132 offset:384
	ds_load_b128 v[76:79], v132 offset:448
	s_wait_dscnt 0x7
	v_add_f64_e32 v[80:81], v[52:53], v[60:61]
	v_add_f64_e32 v[82:83], v[54:55], v[62:63]
	s_wait_dscnt 0x6
	v_add_f64_e64 v[88:89], v[62:63], -v[46:47]
	v_add_f64_e64 v[90:91], v[60:61], -v[44:45]
	s_wait_dscnt 0x2
	v_add_f64_e64 v[100:101], v[70:71], -v[58:59]
	v_add_f64_e64 v[102:103], v[68:69], -v[56:57]
	v_add_f64_e32 v[104:105], v[68:69], v[56:57]
	v_add_f64_e32 v[106:107], v[70:71], v[58:59]
	v_add_f64_e64 v[96:97], v[66:67], -v[50:51]
	v_add_f64_e64 v[98:99], v[64:65], -v[48:49]
	v_add_f64_e32 v[60:61], v[60:61], v[44:45]
	v_add_f64_e32 v[62:63], v[62:63], v[46:47]
	;; [unrolled: 1-line block ×4, first 2 shown]
	ds_load_b128 v[80:83], v132 offset:256
	ds_load_b128 v[84:87], v132 offset:320
	v_mul_f64_e32 v[124:125], s[26:27], v[88:89]
	v_mul_f64_e32 v[126:127], s[26:27], v[90:91]
	;; [unrolled: 1-line block ×10, first 2 shown]
	v_add_f64_e32 v[64:65], v[64:65], v[48:49]
	v_add_f64_e32 v[66:67], v[66:67], v[50:51]
	v_mul_f64_e32 v[147:148], s[24:25], v[96:97]
	v_mul_f64_e32 v[149:150], s[24:25], v[98:99]
	;; [unrolled: 1-line block ×6, first 2 shown]
	s_wait_dscnt 0x1
	v_add_f64_e32 v[108:109], v[80:81], v[76:77]
	v_add_f64_e64 v[110:111], v[82:83], -v[78:79]
	v_add_f64_e64 v[112:113], v[80:81], -v[76:77]
	v_add_f64_e32 v[114:115], v[82:83], v[78:79]
	v_mul_f64_e32 v[159:160], s[20:21], v[100:101]
	v_mul_f64_e32 v[161:162], s[20:21], v[102:103]
	;; [unrolled: 1-line block ×4, first 2 shown]
	s_wait_dscnt 0x0
	v_add_f64_e64 v[120:121], v[84:85], -v[72:73]
	v_add_f64_e64 v[122:123], v[86:87], -v[74:75]
	v_mul_f64_e32 v[167:168], s[26:27], v[100:101]
	v_mul_f64_e32 v[169:170], s[26:27], v[102:103]
	;; [unrolled: 1-line block ×4, first 2 shown]
	v_add_f64_e32 v[116:117], v[84:85], v[72:73]
	v_add_f64_e32 v[118:119], v[86:87], v[74:75]
	global_wb scope:SCOPE_SE
	v_add_f64_e32 v[68:69], v[92:93], v[68:69]
	v_add_f64_e32 v[70:71], v[94:95], v[70:71]
	v_mul_f64_e32 v[92:93], s[18:19], v[96:97]
	v_mul_f64_e32 v[94:95], s[18:19], v[98:99]
	s_wait_alu 0xfffe
	v_fma_f64 v[201:202], v[60:61], s[2:3], -v[124:125]
	v_mul_f64_e32 v[96:97], s[30:31], v[96:97]
	v_fma_f64 v[203:204], v[62:63], s[12:13], v[137:138]
	v_fma_f64 v[205:206], v[60:61], s[14:15], -v[139:140]
	v_fma_f64 v[207:208], v[62:63], s[14:15], v[141:142]
	v_fma_f64 v[139:140], v[60:61], s[14:15], v[139:140]
	v_fma_f64 v[209:210], v[60:61], s[16:17], -v[143:144]
	v_fma_f64 v[211:212], v[62:63], s[16:17], v[145:146]
	v_mul_f64_e32 v[98:99], s[30:31], v[98:99]
	v_fma_f64 v[143:144], v[60:61], s[16:17], v[143:144]
	v_fma_f64 v[213:214], v[60:61], s[22:23], -v[88:89]
	v_fma_f64 v[215:216], v[62:63], s[22:23], v[90:91]
	v_fma_f64 v[137:138], v[62:63], s[12:13], -v[137:138]
	v_fma_f64 v[141:142], v[62:63], s[14:15], -v[141:142]
	v_fma_f64 v[145:146], v[62:63], s[16:17], -v[145:146]
	s_mov_b32 s19, 0x3fed1bb4
	v_fma_f64 v[217:218], v[64:65], s[16:17], -v[147:148]
	v_fma_f64 v[219:220], v[66:67], s[16:17], v[149:150]
	s_wait_alu 0xfffe
	v_mul_f64_e32 v[100:101], s[18:19], v[100:101]
	v_mul_f64_e32 v[102:103], s[18:19], v[102:103]
	v_fma_f64 v[221:222], v[64:65], s[22:23], -v[151:152]
	v_fma_f64 v[223:224], v[66:67], s[22:23], v[153:154]
	v_fma_f64 v[151:152], v[64:65], s[22:23], v[151:152]
	v_fma_f64 v[225:226], v[64:65], s[14:15], -v[155:156]
	v_fma_f64 v[227:228], v[66:67], s[14:15], v[157:158]
	v_fma_f64 v[147:148], v[64:65], s[16:17], v[147:148]
	;; [unrolled: 1-line block ×3, first 2 shown]
	v_fma_f64 v[149:150], v[66:67], s[16:17], -v[149:150]
	v_fma_f64 v[153:154], v[66:67], s[22:23], -v[153:154]
	;; [unrolled: 1-line block ×3, first 2 shown]
	v_mul_f64_e32 v[179:180], s[36:37], v[110:111]
	v_mul_f64_e32 v[181:182], s[36:37], v[112:113]
	v_fma_f64 v[231:232], v[106:107], s[22:23], v[165:166]
	v_mul_f64_e32 v[175:176], s[24:25], v[110:111]
	v_add_f64_e32 v[68:69], v[68:69], v[80:81]
	v_add_f64_e32 v[70:71], v[70:71], v[82:83]
	v_fma_f64 v[80:81], v[62:63], s[2:3], v[126:127]
	v_fma_f64 v[82:83], v[60:61], s[2:3], v[124:125]
	v_fma_f64 v[124:125], v[62:63], s[2:3], -v[126:127]
	v_fma_f64 v[126:127], v[60:61], s[12:13], -v[129:130]
	v_fma_f64 v[129:130], v[60:61], s[12:13], v[129:130]
	v_fma_f64 v[60:61], v[60:61], s[22:23], v[88:89]
	v_fma_f64 v[62:63], v[62:63], s[22:23], -v[90:91]
	v_fma_f64 v[88:89], v[64:65], s[12:13], -v[92:93]
	v_fma_f64 v[90:91], v[66:67], s[12:13], v[94:95]
	v_fma_f64 v[92:93], v[64:65], s[12:13], v[92:93]
	v_fma_f64 v[94:95], v[66:67], s[12:13], -v[94:95]
	v_add_f64_e32 v[201:202], v[52:53], v[201:202]
	v_add_f64_e32 v[203:204], v[54:55], v[203:204]
	;; [unrolled: 1-line block ×7, first 2 shown]
	v_fma_f64 v[229:230], v[64:65], s[2:3], -v[96:97]
	v_add_f64_e32 v[143:144], v[52:53], v[143:144]
	v_add_f64_e32 v[213:214], v[52:53], v[213:214]
	;; [unrolled: 1-line block ×3, first 2 shown]
	v_fma_f64 v[64:65], v[64:65], s[2:3], v[96:97]
	v_add_f64_e32 v[137:138], v[54:55], v[137:138]
	v_add_f64_e32 v[141:142], v[54:55], v[141:142]
	;; [unrolled: 1-line block ×3, first 2 shown]
	v_fma_f64 v[96:97], v[106:107], s[14:15], v[161:162]
	v_mul_f64_e32 v[177:178], s[24:25], v[112:113]
	v_mul_f64_e32 v[183:184], s[26:27], v[110:111]
	;; [unrolled: 1-line block ×7, first 2 shown]
	v_fma_f64 v[233:234], v[104:105], s[2:3], -v[167:168]
	v_mul_f64_e32 v[110:111], s[18:19], v[110:111]
	v_add_f64_e32 v[68:69], v[68:69], v[84:85]
	v_add_f64_e32 v[70:71], v[70:71], v[86:87]
	v_fma_f64 v[84:85], v[66:67], s[2:3], v[98:99]
	v_add_f64_e32 v[82:83], v[52:53], v[82:83]
	v_add_f64_e32 v[124:125], v[54:55], v[124:125]
	;; [unrolled: 1-line block ×4, first 2 shown]
	v_fma_f64 v[66:67], v[66:67], s[2:3], -v[98:99]
	v_add_f64_e32 v[80:81], v[54:55], v[80:81]
	v_add_f64_e32 v[52:53], v[52:53], v[60:61]
	;; [unrolled: 1-line block ×3, first 2 shown]
	v_fma_f64 v[86:87], v[104:105], s[14:15], -v[159:160]
	v_fma_f64 v[98:99], v[104:105], s[14:15], v[159:160]
	v_fma_f64 v[159:160], v[106:107], s[14:15], -v[161:162]
	v_fma_f64 v[161:162], v[104:105], s[22:23], -v[163:164]
	v_add_f64_e32 v[88:89], v[88:89], v[201:202]
	v_add_f64_e32 v[203:204], v[219:220], v[203:204]
	v_fma_f64 v[163:164], v[104:105], s[22:23], v[163:164]
	v_fma_f64 v[60:61], v[106:107], s[2:3], v[169:170]
	;; [unrolled: 1-line block ×3, first 2 shown]
	v_fma_f64 v[167:168], v[106:107], s[2:3], -v[169:170]
	v_fma_f64 v[169:170], v[104:105], s[16:17], -v[171:172]
	v_mul_f64_e32 v[112:113], s[18:19], v[112:113]
	v_add_f64_e32 v[205:206], v[221:222], v[205:206]
	v_add_f64_e32 v[207:208], v[223:224], v[207:208]
	;; [unrolled: 1-line block ×7, first 2 shown]
	v_fma_f64 v[165:166], v[106:107], s[22:23], -v[165:166]
	v_add_f64_e32 v[137:138], v[149:150], v[137:138]
	v_mul_f64_e32 v[195:196], s[30:31], v[122:123]
	v_mul_f64_e32 v[197:198], s[30:31], v[120:121]
	v_fma_f64 v[219:220], v[108:109], s[14:15], -v[179:180]
	v_mul_f64_e32 v[199:200], s[24:25], v[122:123]
	v_fma_f64 v[179:180], v[108:109], s[14:15], v[179:180]
	v_fma_f64 v[149:150], v[114:115], s[22:23], v[189:190]
	v_add_f64_e32 v[68:69], v[68:69], v[72:73]
	v_add_f64_e32 v[70:71], v[70:71], v[74:75]
	v_fma_f64 v[72:73], v[106:107], s[16:17], v[173:174]
	v_add_f64_e32 v[82:83], v[92:93], v[82:83]
	v_add_f64_e32 v[94:95], v[94:95], v[124:125]
	;; [unrolled: 1-line block ×3, first 2 shown]
	v_fma_f64 v[74:75], v[104:105], s[16:17], v[171:172]
	v_fma_f64 v[171:172], v[106:107], s[16:17], -v[173:174]
	v_fma_f64 v[173:174], v[104:105], s[12:13], -v[100:101]
	v_fma_f64 v[100:101], v[104:105], s[12:13], v[100:101]
	v_fma_f64 v[104:105], v[106:107], s[12:13], v[102:103]
	v_add_f64_e32 v[129:130], v[147:148], v[129:130]
	v_add_f64_e32 v[84:85], v[84:85], v[215:216]
	;; [unrolled: 1-line block ×5, first 2 shown]
	v_fma_f64 v[102:103], v[106:107], s[12:13], -v[102:103]
	v_add_f64_e32 v[66:67], v[153:154], v[141:142]
	v_fma_f64 v[147:148], v[114:115], s[14:15], v[181:182]
	v_add_f64_e32 v[86:87], v[86:87], v[88:89]
	v_mul_f64_e32 v[106:107], s[24:25], v[120:121]
	v_fma_f64 v[124:125], v[108:109], s[16:17], -v[175:176]
	v_fma_f64 v[217:218], v[114:115], s[16:17], v[177:178]
	v_fma_f64 v[175:176], v[108:109], s[16:17], v[175:176]
	v_fma_f64 v[177:178], v[114:115], s[16:17], -v[177:178]
	v_fma_f64 v[181:182], v[114:115], s[14:15], -v[181:182]
	;; [unrolled: 1-line block ×4, first 2 shown]
	v_fma_f64 v[153:154], v[108:109], s[22:23], v[187:188]
	v_fma_f64 v[157:158], v[114:115], s[22:23], -v[189:190]
	v_fma_f64 v[187:188], v[116:117], s[22:23], v[191:192]
	v_fma_f64 v[189:190], v[118:119], s[22:23], -v[193:194]
	v_mul_f64_e32 v[201:202], s[20:21], v[122:123]
	v_mul_f64_e32 v[92:93], s[20:21], v[120:121]
	v_mul_f64_e32 v[122:123], s[18:19], v[122:123]
	v_mul_f64_e32 v[120:121], s[18:19], v[120:121]
	v_add_f64_e32 v[60:61], v[60:61], v[209:210]
	v_add_f64_e32 v[62:63], v[62:63], v[143:144]
	;; [unrolled: 1-line block ×9, first 2 shown]
	v_fma_f64 v[78:79], v[108:109], s[2:3], -v[183:184]
	v_fma_f64 v[80:81], v[114:115], s[2:3], v[185:186]
	v_fma_f64 v[90:91], v[108:109], s[2:3], v[183:184]
	v_fma_f64 v[183:184], v[116:117], s[22:23], -v[191:192]
	v_fma_f64 v[185:186], v[118:119], s[22:23], v[193:194]
	v_fma_f64 v[191:192], v[108:109], s[12:13], -v[110:111]
	v_fma_f64 v[193:194], v[114:115], s[12:13], v[112:113]
	v_fma_f64 v[108:109], v[108:109], s[12:13], v[110:111]
	v_fma_f64 v[110:111], v[114:115], s[12:13], -v[112:113]
	v_add_f64_e32 v[114:115], v[173:174], v[205:206]
	v_add_f64_e32 v[104:105], v[104:105], v[207:208]
	;; [unrolled: 1-line block ×12, first 2 shown]
	v_fma_f64 v[102:103], v[116:117], s[16:17], -v[199:200]
	v_fma_f64 v[137:138], v[118:119], s[16:17], v[106:107]
	v_fma_f64 v[84:85], v[116:117], s[2:3], v[195:196]
	v_fma_f64 v[139:140], v[116:117], s[16:17], v[199:200]
	v_fma_f64 v[143:144], v[116:117], s[14:15], -v[201:202]
	v_fma_f64 v[155:156], v[116:117], s[14:15], v[201:202]
	v_fma_f64 v[159:160], v[116:117], s[12:13], -v[122:123]
	v_fma_f64 v[161:162], v[118:119], s[12:13], v[120:121]
	v_fma_f64 v[151:152], v[118:119], s[14:15], v[92:93]
	v_fma_f64 v[92:93], v[118:119], s[14:15], -v[92:93]
	v_add_f64_e32 v[56:57], v[68:69], v[56:57]
	v_add_f64_e32 v[58:59], v[70:71], v[58:59]
	v_add_f64_e32 v[68:69], v[96:97], v[76:77]
	v_fma_f64 v[70:71], v[116:117], s[2:3], -v[195:196]
	v_fma_f64 v[76:77], v[118:119], s[2:3], v[197:198]
	v_add_f64_e32 v[94:95], v[219:220], v[94:95]
	v_add_f64_e32 v[98:99], v[147:148], v[98:99]
	v_fma_f64 v[116:117], v[116:117], s[12:13], v[122:123]
	v_add_f64_e32 v[122:123], v[149:150], v[60:61]
	v_fma_f64 v[96:97], v[118:119], s[2:3], -v[197:198]
	v_fma_f64 v[106:107], v[118:119], s[16:17], -v[106:107]
	;; [unrolled: 1-line block ×3, first 2 shown]
	v_add_f64_e32 v[86:87], v[124:125], v[86:87]
	v_add_f64_e32 v[124:125], v[153:154], v[62:63]
	;; [unrolled: 1-line block ×16, first 2 shown]
	s_barrier_signal -1
	s_barrier_wait -1
	global_inv scope:SCOPE_SE
	s_load_b64 s[2:3], s[0:1], 0x38
	v_add_f64_e32 v[147:148], v[56:57], v[48:49]
	v_add_f64_e32 v[50:51], v[58:59], v[50:51]
	v_add_f64_e32 v[149:150], v[217:218], v[68:69]
	v_add_f64_e32 v[52:53], v[70:71], v[94:95]
	v_add_f64_e32 v[54:55], v[76:77], v[98:99]
	v_mul_u32_u24_e32 v76, 11, v131
	v_add_f64_e32 v[62:63], v[161:162], v[122:123]
	v_add_f64_e32 v[48:49], v[183:184], v[86:87]
	v_add_f64_e32 v[64:65], v[116:117], v[124:125]
	v_add_f64_e32 v[88:89], v[187:188], v[82:83]
	v_add_f64_e32 v[90:91], v[189:190], v[120:121]
	v_add_f64_e32 v[56:57], v[102:103], v[78:79]
	v_add_f64_e32 v[58:59], v[137:138], v[104:105]
	v_add_f64_e32 v[60:61], v[159:160], v[114:115]
	v_add_f64_e32 v[80:81], v[84:85], v[112:113]
	v_add_f64_e32 v[68:69], v[143:144], v[126:127]
	v_add_f64_e32 v[70:71], v[151:152], v[72:73]
	v_add_f64_e32 v[72:73], v[155:156], v[108:109]
	v_add_f64_e32 v[74:75], v[92:93], v[110:111]
	v_add_f64_e32 v[66:67], v[118:119], v[129:130]
	v_add_f64_e32 v[84:85], v[139:140], v[100:101]
	v_add_f64_e32 v[86:87], v[106:107], v[141:142]
	v_add_f64_e32 v[82:83], v[96:97], v[145:146]
	v_add_lshl_u32 v135, v136, v76, 4
	v_add_co_u32 v129, s0, s8, v134
	s_wait_alu 0xf1ff
	v_add_co_ci_u32_e64 v130, null, s9, 0, s0
	v_cmp_eq_u32_e64 s0, 3, v131
                                        ; implicit-def: $vgpr100_vgpr101
	v_add_f64_e32 v[44:45], v[147:148], v[44:45]
	v_add_f64_e32 v[46:47], v[50:51], v[46:47]
	;; [unrolled: 1-line block ×3, first 2 shown]
	ds_store_b128 v135, v[52:55] offset:32
	ds_store_b128 v135, v[56:59] offset:48
	;; [unrolled: 1-line block ×9, first 2 shown]
	ds_store_b128 v135, v[44:47]
	ds_store_b128 v135, v[48:51] offset:16
	global_wb scope:SCOPE_SE
	s_wait_dscnt 0x0
	s_wait_kmcnt 0x0
	s_barrier_signal -1
	s_barrier_wait -1
	global_inv scope:SCOPE_SE
	ds_load_b128 v[92:95], v133
	ds_load_b128 v[96:99], v132 offset:64
	ds_load_b128 v[116:119], v132 offset:176
	;; [unrolled: 1-line block ×7, first 2 shown]
	s_and_saveexec_b32 s1, vcc_lo
	s_cbranch_execz .LBB0_3
; %bb.2:
	ds_load_b128 v[84:87], v132 offset:128
	ds_load_b128 v[80:83], v132 offset:304
	;; [unrolled: 1-line block ×4, first 2 shown]
.LBB0_3:
	s_wait_alu 0xfffe
	s_or_b32 exec_lo, exec_lo, s1
	v_mad_co_u64_u32 v[44:45], null, v131, 48, s[10:11]
	s_clause 0x5
	global_load_b128 v[64:67], v[44:45], off
	global_load_b128 v[60:63], v[44:45], off offset:16
	global_load_b128 v[56:59], v[44:45], off offset:32
	global_load_b128 v[76:79], v[44:45], off offset:192
	global_load_b128 v[72:75], v[44:45], off offset:208
	global_load_b128 v[68:71], v[44:45], off offset:224
	v_or_b32_e32 v44, 8, v131
	s_delay_alu instid0(VALU_DEP_1) | instskip(SKIP_1) | instid1(VALU_DEP_2)
	v_mul_hi_u32_u24_e32 v45, 3, v44
	v_mul_u32_u24_e32 v44, 3, v44
	v_cndmask_b32_e64 v45, v45, 0, s0
	s_delay_alu instid0(VALU_DEP_2) | instskip(NEXT) | instid1(VALU_DEP_1)
	v_cndmask_b32_e64 v44, v44, 0, s0
	v_lshlrev_b64_e32 v[44:45], 4, v[44:45]
	s_delay_alu instid0(VALU_DEP_1) | instskip(SKIP_1) | instid1(VALU_DEP_2)
	v_add_co_u32 v44, s0, s10, v44
	s_wait_alu 0xf1ff
	v_add_co_ci_u32_e64 v45, s0, s11, v45, s0
	s_clause 0x2
	global_load_b128 v[52:55], v[44:45], off
	global_load_b128 v[48:51], v[44:45], off offset:16
	global_load_b128 v[44:47], v[44:45], off offset:32
	s_wait_loadcnt_dscnt 0x805
	v_mul_f64_e32 v[137:138], v[118:119], v[66:67]
	v_mul_f64_e32 v[139:140], v[116:117], v[66:67]
	s_wait_loadcnt_dscnt 0x703
	v_mul_f64_e32 v[141:142], v[122:123], v[62:63]
	v_mul_f64_e32 v[143:144], v[120:121], v[62:63]
	;; [unrolled: 3-line block ×3, first 2 shown]
	s_wait_loadcnt 0x5
	v_mul_f64_e32 v[149:150], v[106:107], v[78:79]
	v_mul_f64_e32 v[151:152], v[104:105], v[78:79]
	s_wait_loadcnt 0x4
	v_mul_f64_e32 v[153:154], v[110:111], v[74:75]
	v_mul_f64_e32 v[155:156], v[108:109], v[74:75]
	s_wait_loadcnt_dscnt 0x300
	v_mul_f64_e32 v[157:158], v[114:115], v[70:71]
	v_mul_f64_e32 v[159:160], v[112:113], v[70:71]
	v_fma_f64 v[116:117], v[116:117], v[64:65], -v[137:138]
	v_fma_f64 v[118:119], v[118:119], v[64:65], v[139:140]
	v_fma_f64 v[120:121], v[120:121], v[60:61], -v[141:142]
	v_fma_f64 v[122:123], v[122:123], v[60:61], v[143:144]
	;; [unrolled: 2-line block ×6, first 2 shown]
	s_wait_loadcnt 0x1
	v_mul_f64_e32 v[143:144], v[88:89], v[50:51]
	s_wait_loadcnt 0x0
	v_mul_f64_e32 v[145:146], v[100:101], v[46:47]
	v_mul_f64_e32 v[147:148], v[102:103], v[46:47]
	v_add_f64_e64 v[120:121], v[92:93], -v[120:121]
	v_add_f64_e64 v[122:123], v[94:95], -v[122:123]
	v_add_f64_e64 v[124:125], v[116:117], -v[124:125]
	v_add_f64_e64 v[126:127], v[118:119], -v[126:127]
	v_add_f64_e64 v[137:138], v[96:97], -v[108:109]
	v_add_f64_e64 v[139:140], v[98:99], -v[110:111]
	v_add_f64_e64 v[141:142], v[104:105], -v[112:113]
	v_add_f64_e64 v[112:113], v[106:107], -v[114:115]
	v_mul_f64_e32 v[108:109], v[82:83], v[54:55]
	v_mul_f64_e32 v[110:111], v[80:81], v[54:55]
	;; [unrolled: 1-line block ×3, first 2 shown]
	v_fma_f64 v[149:150], v[92:93], 2.0, -v[120:121]
	v_fma_f64 v[151:152], v[94:95], 2.0, -v[122:123]
	;; [unrolled: 1-line block ×8, first 2 shown]
	v_fma_f64 v[92:93], v[80:81], v[52:53], -v[108:109]
	v_fma_f64 v[94:95], v[82:83], v[52:53], v[110:111]
	v_fma_f64 v[80:81], v[88:89], v[48:49], -v[114:115]
	v_fma_f64 v[82:83], v[90:91], v[48:49], v[143:144]
	v_fma_f64 v[143:144], v[102:103], v[44:45], v[145:146]
	v_fma_f64 v[145:146], v[100:101], v[44:45], -v[147:148]
	v_add_f64_e64 v[100:101], v[120:121], -v[126:127]
	v_add_f64_e32 v[102:103], v[122:123], v[124:125]
	v_add_f64_e64 v[112:113], v[137:138], -v[112:113]
	v_add_f64_e32 v[114:115], v[139:140], v[141:142]
	v_add_f64_e64 v[104:105], v[149:150], -v[116:117]
	v_add_f64_e64 v[106:107], v[151:152], -v[118:119]
	;; [unrolled: 1-line block ×8, first 2 shown]
	v_fma_f64 v[116:117], v[120:121], 2.0, -v[100:101]
	v_fma_f64 v[118:119], v[122:123], 2.0, -v[102:103]
	;; [unrolled: 1-line block ×8, first 2 shown]
	ds_store_b128 v133, v[120:123]
	ds_store_b128 v132, v[116:119] offset:176
	ds_store_b128 v132, v[124:127] offset:64
	;; [unrolled: 1-line block ×7, first 2 shown]
	v_add_f64_e64 v[80:81], v[88:89], -v[98:99]
	v_add_f64_e32 v[82:83], v[90:91], v[96:97]
	s_and_saveexec_b32 s0, vcc_lo
	s_cbranch_execz .LBB0_5
; %bb.4:
	v_fma_f64 v[100:101], v[86:87], 2.0, -v[90:91]
	v_fma_f64 v[86:87], v[94:95], 2.0, -v[98:99]
	;; [unrolled: 1-line block ×6, first 2 shown]
	v_add_f64_e64 v[86:87], v[100:101], -v[86:87]
	s_delay_alu instid0(VALU_DEP_4) | instskip(NEXT) | instid1(VALU_DEP_2)
	v_add_f64_e64 v[84:85], v[98:99], -v[84:85]
	v_fma_f64 v[94:95], v[100:101], 2.0, -v[86:87]
	s_delay_alu instid0(VALU_DEP_2)
	v_fma_f64 v[92:93], v[98:99], 2.0, -v[84:85]
	ds_store_b128 v132, v[92:95] offset:128
	ds_store_b128 v132, v[88:91] offset:304
	;; [unrolled: 1-line block ×4, first 2 shown]
.LBB0_5:
	s_wait_alu 0xfffe
	s_or_b32 exec_lo, exec_lo, s0
	global_wb scope:SCOPE_SE
	s_wait_dscnt 0x0
	s_barrier_signal -1
	s_barrier_wait -1
	global_inv scope:SCOPE_SE
	global_load_b128 v[84:87], v[129:130], off offset:704
	ds_load_b128 v[88:91], v133
	s_add_nc_u64 s[0:1], s[8:9], 0x2c0
	v_lshl_add_u32 v129, v136, 4, v134
	s_mov_b32 s28, 0xf8bb580b
	s_mov_b32 s12, 0x8eee2c13
	;; [unrolled: 1-line block ×21, first 2 shown]
	s_wait_alu 0xfffe
	s_mov_b32 s36, s28
	s_mov_b32 s34, s12
	;; [unrolled: 1-line block ×4, first 2 shown]
	s_wait_loadcnt_dscnt 0x0
	v_mul_f64_e32 v[92:93], v[90:91], v[86:87]
	v_mul_f64_e32 v[94:95], v[88:89], v[86:87]
	s_delay_alu instid0(VALU_DEP_2) | instskip(NEXT) | instid1(VALU_DEP_2)
	v_fma_f64 v[86:87], v[88:89], v[84:85], -v[92:93]
	v_fma_f64 v[88:89], v[90:91], v[84:85], v[94:95]
	global_load_b128 v[90:93], v134, s[0:1] offset:64
	ds_store_b128 v133, v[86:89]
	ds_load_b128 v[84:87], v132 offset:64
	ds_load_b128 v[110:113], v132 offset:320
	;; [unrolled: 1-line block ×8, first 2 shown]
	s_wait_loadcnt_dscnt 0x7
	v_mul_f64_e32 v[88:89], v[86:87], v[92:93]
	v_mul_f64_e32 v[92:93], v[84:85], v[92:93]
	s_delay_alu instid0(VALU_DEP_2) | instskip(NEXT) | instid1(VALU_DEP_2)
	v_fma_f64 v[84:85], v[84:85], v[90:91], -v[88:89]
	v_fma_f64 v[86:87], v[86:87], v[90:91], v[92:93]
	global_load_b128 v[88:91], v134, s[0:1] offset:128
	ds_load_b128 v[92:95], v129 offset:128
	s_wait_loadcnt_dscnt 0x0
	v_mul_f64_e32 v[96:97], v[94:95], v[90:91]
	v_mul_f64_e32 v[98:99], v[92:93], v[90:91]
	s_delay_alu instid0(VALU_DEP_2) | instskip(NEXT) | instid1(VALU_DEP_2)
	v_fma_f64 v[90:91], v[92:93], v[88:89], -v[96:97]
	v_fma_f64 v[92:93], v[94:95], v[88:89], v[98:99]
	global_load_b128 v[94:97], v134, s[0:1] offset:192
	ds_load_b128 v[98:101], v132 offset:192
	s_wait_loadcnt_dscnt 0x0
	v_mul_f64_e32 v[88:89], v[100:101], v[96:97]
	v_mul_f64_e32 v[102:103], v[98:99], v[96:97]
	s_delay_alu instid0(VALU_DEP_2) | instskip(NEXT) | instid1(VALU_DEP_2)
	v_fma_f64 v[96:97], v[98:99], v[94:95], -v[88:89]
	v_fma_f64 v[98:99], v[100:101], v[94:95], v[102:103]
	global_load_b128 v[100:103], v134, s[0:1] offset:256
	s_wait_loadcnt 0x0
	v_mul_f64_e32 v[88:89], v[106:107], v[102:103]
	v_mul_f64_e32 v[94:95], v[104:105], v[102:103]
	s_delay_alu instid0(VALU_DEP_2) | instskip(NEXT) | instid1(VALU_DEP_2)
	v_fma_f64 v[102:103], v[104:105], v[100:101], -v[88:89]
	v_fma_f64 v[104:105], v[106:107], v[100:101], v[94:95]
	global_load_b128 v[106:109], v134, s[0:1] offset:320
	s_wait_loadcnt 0x0
	;; [unrolled: 7-line block ×6, first 2 shown]
	v_mul_f64_e32 v[88:89], v[142:143], v[126:127]
	v_mul_f64_e32 v[94:95], v[140:141], v[126:127]
	s_delay_alu instid0(VALU_DEP_2) | instskip(NEXT) | instid1(VALU_DEP_2)
	v_fma_f64 v[140:141], v[140:141], v[124:125], -v[88:89]
	v_fma_f64 v[142:143], v[142:143], v[124:125], v[94:95]
	global_load_b128 v[124:127], v134, s[0:1] offset:640
	s_mov_b32 s0, 0xfd768dbf
	s_mov_b32 s1, 0xbfd207e7
	s_wait_alu 0xfffe
	s_mov_b32 s22, s0
	s_wait_loadcnt 0x0
	v_mul_f64_e32 v[88:89], v[146:147], v[126:127]
	v_mul_f64_e32 v[94:95], v[144:145], v[126:127]
	s_delay_alu instid0(VALU_DEP_2) | instskip(NEXT) | instid1(VALU_DEP_2)
	v_fma_f64 v[144:145], v[144:145], v[124:125], -v[88:89]
	v_fma_f64 v[146:147], v[146:147], v[124:125], v[94:95]
	ds_store_b128 v132, v[84:87] offset:64
	ds_store_b128 v132, v[96:99] offset:192
	;; [unrolled: 1-line block ×10, first 2 shown]
	global_wb scope:SCOPE_SE
	s_wait_dscnt 0x0
	s_barrier_signal -1
	s_barrier_wait -1
	global_inv scope:SCOPE_SE
	ds_load_b128 v[84:87], v133
	ds_load_b128 v[88:91], v132 offset:64
	ds_load_b128 v[92:95], v129 offset:128
	s_wait_dscnt 0x1
	v_add_f64_e32 v[96:97], v[84:85], v[88:89]
	s_wait_dscnt 0x0
	s_delay_alu instid0(VALU_DEP_1) | instskip(SKIP_1) | instid1(VALU_DEP_1)
	v_add_f64_e32 v[100:101], v[96:97], v[92:93]
	v_add_f64_e32 v[96:97], v[86:87], v[90:91]
	v_add_f64_e32 v[102:103], v[96:97], v[94:95]
	ds_load_b128 v[96:99], v132 offset:192
	s_wait_dscnt 0x0
	v_add_f64_e32 v[104:105], v[100:101], v[96:97]
	v_add_f64_e32 v[106:107], v[102:103], v[98:99]
	ds_load_b128 v[100:103], v132 offset:256
	s_wait_dscnt 0x0
	v_add_f64_e32 v[108:109], v[104:105], v[100:101]
	v_add_f64_e32 v[110:111], v[106:107], v[102:103]
	;; [unrolled: 4-line block ×4, first 2 shown]
	v_add_f64_e64 v[138:139], v[104:105], -v[108:109]
	v_add_f64_e64 v[126:127], v[106:107], -v[110:111]
	v_add_f64_e32 v[108:109], v[112:113], v[108:109]
	ds_load_b128 v[104:107], v132 offset:448
	v_add_f64_e32 v[110:111], v[114:115], v[110:111]
	s_wait_dscnt 0x0
	v_add_f64_e32 v[140:141], v[100:101], v[104:105]
	v_add_f64_e32 v[142:143], v[102:103], v[106:107]
	v_add_f64_e64 v[144:145], v[102:103], -v[106:107]
	v_add_f64_e64 v[146:147], v[100:101], -v[104:105]
	ds_load_b128 v[100:103], v132 offset:512
	v_mul_f64_e32 v[192:193], s[24:25], v[124:125]
	v_mul_f64_e32 v[206:207], s[16:17], v[124:125]
	;; [unrolled: 1-line block ×3, first 2 shown]
	v_add_f64_e32 v[104:105], v[108:109], v[104:105]
	v_mul_f64_e32 v[204:205], s[8:9], v[126:127]
	v_mul_f64_e32 v[218:219], s[34:35], v[126:127]
	;; [unrolled: 1-line block ×3, first 2 shown]
	s_wait_dscnt 0x0
	v_add_f64_e64 v[148:149], v[98:99], -v[102:103]
	v_add_f64_e32 v[150:151], v[98:99], v[102:103]
	v_add_f64_e32 v[152:153], v[96:97], v[100:101]
	v_add_f64_e64 v[154:155], v[96:97], -v[100:101]
	ds_load_b128 v[96:99], v132 offset:576
	v_add_f64_e32 v[106:107], v[110:111], v[106:107]
	v_mul_f64_e32 v[188:189], s[18:19], v[142:143]
	v_mul_f64_e32 v[186:187], s[30:31], v[144:145]
	;; [unrolled: 1-line block ×6, first 2 shown]
	s_wait_dscnt 0x0
	v_add_f64_e64 v[156:157], v[94:95], -v[98:99]
	v_add_f64_e32 v[158:159], v[94:95], v[98:99]
	v_add_f64_e32 v[160:161], v[92:93], v[96:97]
	v_add_f64_e64 v[162:163], v[92:93], -v[96:97]
	ds_load_b128 v[92:95], v132 offset:640
	global_wb scope:SCOPE_SE
	s_wait_dscnt 0x0
	s_barrier_signal -1
	v_add_f64_e32 v[100:101], v[104:105], v[100:101]
	s_barrier_wait -1
	global_inv scope:SCOPE_SE
	s_wait_alu 0xfffe
	v_mul_f64_e32 v[182:183], s[22:23], v[148:149]
	v_mul_f64_e32 v[184:185], s[14:15], v[150:151]
	;; [unrolled: 1-line block ×5, first 2 shown]
	v_add_f64_e32 v[102:103], v[106:107], v[102:103]
	v_mul_f64_e32 v[208:209], s[30:31], v[156:157]
	v_mul_f64_e32 v[194:195], s[14:15], v[158:159]
	;; [unrolled: 1-line block ×3, first 2 shown]
	v_add_f64_e32 v[96:97], v[100:101], v[96:97]
	v_add_f64_e64 v[100:101], v[90:91], -v[94:95]
	v_add_f64_e32 v[90:91], v[90:91], v[94:95]
	v_add_f64_e32 v[98:99], v[102:103], v[98:99]
	;; [unrolled: 1-line block ×3, first 2 shown]
	v_add_f64_e64 v[88:89], v[88:89], -v[92:93]
	v_add_f64_e32 v[96:97], v[96:97], v[92:93]
	v_mul_f64_e32 v[92:93], s[28:29], v[100:101]
	v_mul_f64_e32 v[104:105], s[10:11], v[100:101]
	;; [unrolled: 1-line block ×6, first 2 shown]
	v_add_f64_e32 v[98:99], v[98:99], v[94:95]
	v_mul_f64_e32 v[94:95], s[12:13], v[100:101]
	v_mul_f64_e32 v[100:101], s[0:1], v[100:101]
	v_fma_f64 v[108:109], v[102:103], s[24:25], v[92:93]
	v_fma_f64 v[92:93], v[102:103], s[24:25], -v[92:93]
	v_fma_f64 v[112:113], v[102:103], s[18:19], v[104:105]
	v_fma_f64 v[104:105], v[102:103], s[18:19], -v[104:105]
	;; [unrolled: 2-line block ×3, first 2 shown]
	v_fma_f64 v[166:167], v[88:89], s[30:31], v[118:119]
	v_fma_f64 v[118:119], v[88:89], s[10:11], v[118:119]
	;; [unrolled: 1-line block ×7, first 2 shown]
	v_fma_f64 v[94:95], v[102:103], s[20:21], -v[94:95]
	v_fma_f64 v[116:117], v[102:103], s[14:15], v[100:101]
	v_fma_f64 v[100:101], v[102:103], s[14:15], -v[100:101]
	v_mul_f64_e32 v[102:103], s[20:21], v[90:91]
	v_mul_f64_e32 v[90:91], s[24:25], v[90:91]
	v_add_f64_e32 v[174:175], v[84:85], v[108:109]
	v_add_f64_e32 v[92:93], v[84:85], v[92:93]
	;; [unrolled: 1-line block ×4, first 2 shown]
	v_mul_f64_e32 v[118:119], s[36:37], v[156:157]
	v_add_f64_e32 v[120:121], v[86:87], v[120:121]
	v_add_f64_e32 v[170:171], v[86:87], v[170:171]
	;; [unrolled: 1-line block ×5, first 2 shown]
	v_fma_f64 v[164:165], v[88:89], s[34:35], v[102:103]
	v_fma_f64 v[102:103], v[88:89], s[12:13], v[102:103]
	;; [unrolled: 1-line block ×4, first 2 shown]
	v_add_f64_e32 v[90:91], v[84:85], v[110:111]
	v_add_f64_e32 v[110:111], v[84:85], v[112:113]
	;; [unrolled: 1-line block ×5, first 2 shown]
	v_fma_f64 v[106:107], v[162:163], s[0:1], v[194:195]
	v_add_f64_e32 v[108:109], v[86:87], v[164:165]
	v_add_f64_e32 v[178:179], v[86:87], v[102:103]
	;; [unrolled: 1-line block ×4, first 2 shown]
	v_mul_f64_e32 v[88:89], s[8:9], v[156:157]
	v_add_f64_e32 v[164:165], v[84:85], v[104:105]
	v_add_f64_e32 v[84:85], v[84:85], v[100:101]
	v_fma_f64 v[102:103], v[152:153], s[14:15], v[182:183]
	v_add_f64_e32 v[106:107], v[106:107], v[112:113]
	v_fma_f64 v[86:87], v[160:161], s[16:17], v[88:89]
	v_fma_f64 v[88:89], v[160:161], s[16:17], -v[88:89]
	s_delay_alu instid0(VALU_DEP_2) | instskip(SKIP_1) | instid1(VALU_DEP_3)
	v_add_f64_e32 v[86:87], v[86:87], v[90:91]
	v_mul_f64_e32 v[90:91], s[16:17], v[158:159]
	v_add_f64_e32 v[88:89], v[88:89], v[94:95]
	v_fma_f64 v[94:95], v[152:153], s[14:15], -v[182:183]
	s_delay_alu instid0(VALU_DEP_4) | instskip(NEXT) | instid1(VALU_DEP_4)
	v_add_f64_e32 v[86:87], v[102:103], v[86:87]
	v_fma_f64 v[100:101], v[162:163], s[26:27], v[90:91]
	v_fma_f64 v[102:103], v[154:155], s[0:1], v[184:185]
	;; [unrolled: 1-line block ×3, first 2 shown]
	v_add_f64_e32 v[88:89], v[94:95], v[88:89]
	v_fma_f64 v[94:95], v[154:155], s[22:23], v[184:185]
	v_add_f64_e32 v[100:101], v[100:101], v[108:109]
	v_fma_f64 v[108:109], v[152:153], s[20:21], v[196:197]
	v_add_f64_e32 v[90:91], v[90:91], v[178:179]
	s_delay_alu instid0(VALU_DEP_3) | instskip(SKIP_1) | instid1(VALU_DEP_3)
	v_add_f64_e32 v[100:101], v[102:103], v[100:101]
	v_fma_f64 v[102:103], v[140:141], s[18:19], v[186:187]
	v_add_f64_e32 v[90:91], v[94:95], v[90:91]
	v_fma_f64 v[94:95], v[140:141], s[18:19], -v[186:187]
	s_delay_alu instid0(VALU_DEP_3) | instskip(SKIP_1) | instid1(VALU_DEP_3)
	v_add_f64_e32 v[86:87], v[102:103], v[86:87]
	v_fma_f64 v[102:103], v[146:147], s[10:11], v[188:189]
	v_add_f64_e32 v[88:89], v[94:95], v[88:89]
	v_fma_f64 v[94:95], v[146:147], s[30:31], v[188:189]
	s_delay_alu instid0(VALU_DEP_3) | instskip(SKIP_1) | instid1(VALU_DEP_3)
	v_add_f64_e32 v[102:103], v[102:103], v[100:101]
	v_fma_f64 v[100:101], v[136:137], s[24:25], v[190:191]
	v_add_f64_e32 v[90:91], v[94:95], v[90:91]
	v_fma_f64 v[94:95], v[136:137], s[24:25], -v[190:191]
	s_delay_alu instid0(VALU_DEP_3) | instskip(SKIP_1) | instid1(VALU_DEP_3)
	v_add_f64_e32 v[100:101], v[100:101], v[86:87]
	v_fma_f64 v[86:87], v[138:139], s[28:29], v[192:193]
	v_add_f64_e32 v[88:89], v[94:95], v[88:89]
	v_mul_f64_e32 v[94:95], s[12:13], v[156:157]
	s_delay_alu instid0(VALU_DEP_3) | instskip(SKIP_1) | instid1(VALU_DEP_3)
	v_add_f64_e32 v[102:103], v[86:87], v[102:103]
	v_mul_f64_e32 v[86:87], s[22:23], v[156:157]
	v_fma_f64 v[156:157], v[160:161], s[20:21], v[94:95]
	v_fma_f64 v[94:95], v[160:161], s[20:21], -v[94:95]
	s_delay_alu instid0(VALU_DEP_3) | instskip(NEXT) | instid1(VALU_DEP_3)
	v_fma_f64 v[104:105], v[160:161], s[14:15], v[86:87]
	v_add_f64_e32 v[156:157], v[156:157], v[174:175]
	s_delay_alu instid0(VALU_DEP_3) | instskip(NEXT) | instid1(VALU_DEP_3)
	v_add_f64_e32 v[92:93], v[94:95], v[92:93]
	v_add_f64_e32 v[104:105], v[104:105], v[110:111]
	v_fma_f64 v[110:111], v[162:163], s[10:11], v[210:211]
	s_delay_alu instid0(VALU_DEP_2) | instskip(SKIP_1) | instid1(VALU_DEP_3)
	v_add_f64_e32 v[104:105], v[108:109], v[104:105]
	v_fma_f64 v[108:109], v[154:155], s[12:13], v[198:199]
	v_add_f64_e32 v[110:111], v[110:111], v[166:167]
	v_mul_f64_e32 v[166:167], s[28:29], v[148:149]
	s_delay_alu instid0(VALU_DEP_3) | instskip(SKIP_1) | instid1(VALU_DEP_3)
	v_add_f64_e32 v[106:107], v[108:109], v[106:107]
	v_fma_f64 v[108:109], v[140:141], s[24:25], v[200:201]
	v_fma_f64 v[112:113], v[152:153], s[24:25], v[166:167]
	s_delay_alu instid0(VALU_DEP_2) | instskip(SKIP_1) | instid1(VALU_DEP_1)
	v_add_f64_e32 v[104:105], v[108:109], v[104:105]
	v_fma_f64 v[108:109], v[146:147], s[36:37], v[202:203]
	v_add_f64_e32 v[106:107], v[108:109], v[106:107]
	v_fma_f64 v[108:109], v[136:137], s[16:17], v[204:205]
	s_delay_alu instid0(VALU_DEP_1) | instskip(SKIP_1) | instid1(VALU_DEP_1)
	v_add_f64_e32 v[104:105], v[108:109], v[104:105]
	v_fma_f64 v[108:109], v[138:139], s[26:27], v[206:207]
	v_add_f64_e32 v[106:107], v[108:109], v[106:107]
	v_fma_f64 v[108:109], v[160:161], s[18:19], v[208:209]
	s_delay_alu instid0(VALU_DEP_1) | instskip(NEXT) | instid1(VALU_DEP_1)
	v_add_f64_e32 v[108:109], v[108:109], v[114:115]
	v_add_f64_e32 v[108:109], v[112:113], v[108:109]
	v_fma_f64 v[112:113], v[154:155], s[36:37], v[212:213]
	s_delay_alu instid0(VALU_DEP_1) | instskip(SKIP_1) | instid1(VALU_DEP_1)
	v_add_f64_e32 v[110:111], v[112:113], v[110:111]
	v_fma_f64 v[112:113], v[140:141], s[14:15], v[214:215]
	v_add_f64_e32 v[108:109], v[112:113], v[108:109]
	v_fma_f64 v[112:113], v[146:147], s[22:23], v[216:217]
	s_delay_alu instid0(VALU_DEP_1) | instskip(SKIP_1) | instid1(VALU_DEP_1)
	v_add_f64_e32 v[110:111], v[112:113], v[110:111]
	v_fma_f64 v[112:113], v[136:137], s[20:21], v[218:219]
	v_add_f64_e32 v[108:109], v[112:113], v[108:109]
	v_fma_f64 v[112:113], v[138:139], s[12:13], v[220:221]
	s_delay_alu instid0(VALU_DEP_1) | instskip(SKIP_2) | instid1(VALU_DEP_2)
	v_add_f64_e32 v[110:111], v[112:113], v[110:111]
	v_fma_f64 v[112:113], v[160:161], s[24:25], v[118:119]
	v_fma_f64 v[118:119], v[160:161], s[24:25], -v[118:119]
	v_add_f64_e32 v[112:113], v[112:113], v[116:117]
	v_mul_f64_e32 v[116:117], s[24:25], v[158:159]
	s_delay_alu instid0(VALU_DEP_3) | instskip(SKIP_1) | instid1(VALU_DEP_3)
	v_add_f64_e32 v[84:85], v[118:119], v[84:85]
	v_mul_f64_e32 v[158:159], s[20:21], v[158:159]
	v_fma_f64 v[114:115], v[162:163], s[28:29], v[116:117]
	v_fma_f64 v[116:117], v[162:163], s[36:37], v[116:117]
	s_delay_alu instid0(VALU_DEP_2) | instskip(SKIP_1) | instid1(VALU_DEP_3)
	v_add_f64_e32 v[114:115], v[114:115], v[170:171]
	v_mul_f64_e32 v[170:171], s[8:9], v[148:149]
	v_add_f64_e32 v[116:117], v[116:117], v[122:123]
	v_mul_f64_e32 v[148:149], s[10:11], v[148:149]
	s_delay_alu instid0(VALU_DEP_3) | instskip(SKIP_1) | instid1(VALU_DEP_2)
	v_fma_f64 v[222:223], v[152:153], s[16:17], v[170:171]
	v_fma_f64 v[118:119], v[152:153], s[16:17], -v[170:171]
	v_add_f64_e32 v[112:113], v[222:223], v[112:113]
	v_mul_f64_e32 v[222:223], s[16:17], v[150:151]
	s_delay_alu instid0(VALU_DEP_3) | instskip(SKIP_1) | instid1(VALU_DEP_3)
	v_add_f64_e32 v[84:85], v[118:119], v[84:85]
	v_mul_f64_e32 v[150:151], s[18:19], v[150:151]
	v_fma_f64 v[224:225], v[154:155], s[26:27], v[222:223]
	v_fma_f64 v[118:119], v[154:155], s[8:9], v[222:223]
	s_delay_alu instid0(VALU_DEP_2) | instskip(SKIP_1) | instid1(VALU_DEP_3)
	v_add_f64_e32 v[114:115], v[224:225], v[114:115]
	v_mul_f64_e32 v[224:225], s[34:35], v[144:145]
	v_add_f64_e32 v[116:117], v[118:119], v[116:117]
	v_mul_f64_e32 v[144:145], s[8:9], v[144:145]
	s_delay_alu instid0(VALU_DEP_3) | instskip(SKIP_1) | instid1(VALU_DEP_2)
	v_fma_f64 v[226:227], v[140:141], s[20:21], v[224:225]
	v_fma_f64 v[118:119], v[140:141], s[20:21], -v[224:225]
	v_add_f64_e32 v[112:113], v[226:227], v[112:113]
	v_mul_f64_e32 v[226:227], s[20:21], v[142:143]
	s_delay_alu instid0(VALU_DEP_3) | instskip(SKIP_1) | instid1(VALU_DEP_3)
	v_add_f64_e32 v[84:85], v[118:119], v[84:85]
	v_mul_f64_e32 v[142:143], s[16:17], v[142:143]
	v_fma_f64 v[228:229], v[146:147], s[12:13], v[226:227]
	v_fma_f64 v[118:119], v[146:147], s[34:35], v[226:227]
	s_delay_alu instid0(VALU_DEP_2) | instskip(SKIP_1) | instid1(VALU_DEP_3)
	v_add_f64_e32 v[114:115], v[228:229], v[114:115]
	v_mul_f64_e32 v[228:229], s[10:11], v[126:127]
	v_add_f64_e32 v[118:119], v[118:119], v[116:117]
	s_delay_alu instid0(VALU_DEP_2) | instskip(SKIP_1) | instid1(VALU_DEP_2)
	v_fma_f64 v[230:231], v[136:137], s[18:19], v[228:229]
	v_fma_f64 v[116:117], v[136:137], s[18:19], -v[228:229]
	v_add_f64_e32 v[112:113], v[230:231], v[112:113]
	v_mul_f64_e32 v[230:231], s[18:19], v[124:125]
	s_delay_alu instid0(VALU_DEP_3) | instskip(SKIP_1) | instid1(VALU_DEP_3)
	v_add_f64_e32 v[116:117], v[116:117], v[84:85]
	v_fma_f64 v[84:85], v[160:161], s[18:19], -v[208:209]
	v_fma_f64 v[122:123], v[138:139], s[10:11], v[230:231]
	v_fma_f64 v[232:233], v[138:139], s[30:31], v[230:231]
	s_delay_alu instid0(VALU_DEP_3) | instskip(SKIP_1) | instid1(VALU_DEP_4)
	v_add_f64_e32 v[84:85], v[84:85], v[168:169]
	v_mul_f64_e32 v[168:169], s[14:15], v[124:125]
	v_add_f64_e32 v[118:119], v[122:123], v[118:119]
	v_fma_f64 v[122:123], v[162:163], s[30:31], v[210:211]
	v_add_f64_e32 v[114:115], v[232:233], v[114:115]
	s_delay_alu instid0(VALU_DEP_2) | instskip(SKIP_2) | instid1(VALU_DEP_2)
	v_add_f64_e32 v[120:121], v[122:123], v[120:121]
	v_fma_f64 v[122:123], v[152:153], s[24:25], -v[166:167]
	v_fma_f64 v[166:167], v[138:139], s[34:35], v[220:221]
	v_add_f64_e32 v[84:85], v[122:123], v[84:85]
	v_fma_f64 v[122:123], v[154:155], s[28:29], v[212:213]
	s_delay_alu instid0(VALU_DEP_1) | instskip(SKIP_1) | instid1(VALU_DEP_1)
	v_add_f64_e32 v[120:121], v[122:123], v[120:121]
	v_fma_f64 v[122:123], v[140:141], s[14:15], -v[214:215]
	v_add_f64_e32 v[84:85], v[122:123], v[84:85]
	v_fma_f64 v[122:123], v[146:147], s[0:1], v[216:217]
	s_delay_alu instid0(VALU_DEP_1) | instskip(SKIP_1) | instid1(VALU_DEP_2)
	v_add_f64_e32 v[122:123], v[122:123], v[120:121]
	v_fma_f64 v[120:121], v[136:137], s[20:21], -v[218:219]
	v_add_f64_e32 v[122:123], v[166:167], v[122:123]
	s_delay_alu instid0(VALU_DEP_2) | instskip(SKIP_3) | instid1(VALU_DEP_3)
	v_add_f64_e32 v[120:121], v[120:121], v[84:85]
	v_fma_f64 v[84:85], v[160:161], s[14:15], -v[86:87]
	v_fma_f64 v[86:87], v[162:163], s[22:23], v[194:195]
	v_fma_f64 v[166:167], v[138:139], s[8:9], v[206:207]
	v_add_f64_e32 v[84:85], v[84:85], v[164:165]
	v_fma_f64 v[164:165], v[152:153], s[20:21], -v[196:197]
	s_delay_alu instid0(VALU_DEP_4) | instskip(NEXT) | instid1(VALU_DEP_2)
	v_add_f64_e32 v[86:87], v[86:87], v[176:177]
	v_add_f64_e32 v[84:85], v[164:165], v[84:85]
	v_fma_f64 v[164:165], v[154:155], s[34:35], v[198:199]
	s_delay_alu instid0(VALU_DEP_1) | instskip(SKIP_1) | instid1(VALU_DEP_1)
	v_add_f64_e32 v[86:87], v[164:165], v[86:87]
	v_fma_f64 v[164:165], v[140:141], s[24:25], -v[200:201]
	v_add_f64_e32 v[84:85], v[164:165], v[84:85]
	v_fma_f64 v[164:165], v[146:147], s[28:29], v[202:203]
	s_delay_alu instid0(VALU_DEP_1) | instskip(SKIP_1) | instid1(VALU_DEP_2)
	v_add_f64_e32 v[86:87], v[164:165], v[86:87]
	v_fma_f64 v[164:165], v[136:137], s[16:17], -v[204:205]
	v_add_f64_e32 v[86:87], v[166:167], v[86:87]
	s_delay_alu instid0(VALU_DEP_2) | instskip(SKIP_3) | instid1(VALU_DEP_3)
	v_add_f64_e32 v[84:85], v[164:165], v[84:85]
	v_fma_f64 v[164:165], v[138:139], s[36:37], v[192:193]
	v_fma_f64 v[166:167], v[152:153], s[18:19], v[148:149]
	v_fma_f64 v[148:149], v[152:153], s[18:19], -v[148:149]
	v_add_f64_e32 v[90:91], v[164:165], v[90:91]
	v_fma_f64 v[164:165], v[162:163], s[34:35], v[158:159]
	s_delay_alu instid0(VALU_DEP_4) | instskip(SKIP_4) | instid1(VALU_DEP_1)
	v_add_f64_e32 v[156:157], v[166:167], v[156:157]
	v_fma_f64 v[166:167], v[154:155], s[30:31], v[150:151]
	v_fma_f64 v[150:151], v[154:155], s[10:11], v[150:151]
	v_add_f64_e32 v[92:93], v[148:149], v[92:93]
	v_add_f64_e32 v[164:165], v[164:165], v[180:181]
	;; [unrolled: 1-line block ×3, first 2 shown]
	v_fma_f64 v[166:167], v[140:141], s[16:17], v[144:145]
	v_fma_f64 v[140:141], v[140:141], s[16:17], -v[144:145]
	s_delay_alu instid0(VALU_DEP_2) | instskip(SKIP_2) | instid1(VALU_DEP_4)
	v_add_f64_e32 v[156:157], v[166:167], v[156:157]
	v_fma_f64 v[166:167], v[146:147], s[26:27], v[142:143]
	v_fma_f64 v[142:143], v[146:147], s[8:9], v[142:143]
	v_add_f64_e32 v[92:93], v[140:141], v[92:93]
	s_delay_alu instid0(VALU_DEP_3) | instskip(SKIP_3) | instid1(VALU_DEP_3)
	v_add_f64_e32 v[164:165], v[166:167], v[164:165]
	v_mul_f64_e32 v[166:167], s[0:1], v[126:127]
	v_fma_f64 v[126:127], v[138:139], s[22:23], v[168:169]
	v_fma_f64 v[138:139], v[138:139], s[0:1], v[168:169]
	;; [unrolled: 1-line block ×3, first 2 shown]
	v_fma_f64 v[136:137], v[136:137], s[14:15], -v[166:167]
	s_delay_alu instid0(VALU_DEP_4) | instskip(NEXT) | instid1(VALU_DEP_3)
	v_add_f64_e32 v[126:127], v[126:127], v[164:165]
	v_add_f64_e32 v[124:125], v[124:125], v[156:157]
	v_fma_f64 v[156:157], v[162:163], s[12:13], v[158:159]
	s_delay_alu instid0(VALU_DEP_4) | instskip(NEXT) | instid1(VALU_DEP_2)
	v_add_f64_e32 v[92:93], v[136:137], v[92:93]
	v_add_f64_e32 v[94:95], v[156:157], v[172:173]
	s_delay_alu instid0(VALU_DEP_1) | instskip(NEXT) | instid1(VALU_DEP_1)
	v_add_f64_e32 v[94:95], v[150:151], v[94:95]
	v_add_f64_e32 v[94:95], v[142:143], v[94:95]
	s_delay_alu instid0(VALU_DEP_1)
	v_add_f64_e32 v[94:95], v[138:139], v[94:95]
	ds_store_b128 v135, v[100:103] offset:32
	ds_store_b128 v135, v[104:107] offset:48
	;; [unrolled: 1-line block ×7, first 2 shown]
	ds_store_b128 v135, v[96:99]
	ds_store_b128 v135, v[84:87] offset:128
	ds_store_b128 v135, v[88:91] offset:144
	;; [unrolled: 1-line block ×3, first 2 shown]
	global_wb scope:SCOPE_SE
	s_wait_dscnt 0x0
	s_barrier_signal -1
	s_barrier_wait -1
	global_inv scope:SCOPE_SE
	ds_load_b128 v[96:99], v133
	ds_load_b128 v[100:103], v132 offset:64
	ds_load_b128 v[116:119], v132 offset:176
	;; [unrolled: 1-line block ×7, first 2 shown]
	s_and_saveexec_b32 s0, vcc_lo
	s_cbranch_execz .LBB0_7
; %bb.6:
	ds_load_b128 v[88:91], v132 offset:304
	ds_load_b128 v[92:95], v132 offset:480
	;; [unrolled: 1-line block ×4, first 2 shown]
.LBB0_7:
	s_wait_alu 0xfffe
	s_or_b32 exec_lo, exec_lo, s0
	s_wait_dscnt 0x5
	v_mul_f64_e32 v[134:135], v[66:67], v[118:119]
	v_mul_f64_e32 v[66:67], v[66:67], v[116:117]
	s_wait_dscnt 0x3
	v_mul_f64_e32 v[136:137], v[62:63], v[122:123]
	v_mul_f64_e32 v[62:63], v[62:63], v[120:121]
	;; [unrolled: 3-line block ×3, first 2 shown]
	v_mul_f64_e32 v[140:141], v[78:79], v[106:107]
	v_mul_f64_e32 v[78:79], v[78:79], v[104:105]
	;; [unrolled: 1-line block ×4, first 2 shown]
	s_wait_dscnt 0x0
	v_mul_f64_e32 v[144:145], v[70:71], v[114:115]
	v_mul_f64_e32 v[70:71], v[70:71], v[112:113]
	v_fma_f64 v[116:117], v[64:65], v[116:117], v[134:135]
	v_fma_f64 v[64:65], v[64:65], v[118:119], -v[66:67]
	v_fma_f64 v[66:67], v[60:61], v[120:121], v[136:137]
	v_fma_f64 v[60:61], v[60:61], v[122:123], -v[62:63]
	;; [unrolled: 2-line block ×6, first 2 shown]
	v_add_f64_e64 v[104:105], v[96:97], -v[66:67]
	v_add_f64_e64 v[106:107], v[98:99], -v[60:61]
	;; [unrolled: 1-line block ×8, first 2 shown]
	v_fma_f64 v[78:79], v[96:97], 2.0, -v[104:105]
	v_fma_f64 v[96:97], v[98:99], 2.0, -v[106:107]
	;; [unrolled: 1-line block ×4, first 2 shown]
	v_add_f64_e32 v[56:57], v[104:105], v[56:57]
	v_fma_f64 v[98:99], v[100:101], 2.0, -v[108:109]
	v_fma_f64 v[100:101], v[102:103], 2.0, -v[110:111]
	;; [unrolled: 1-line block ×4, first 2 shown]
	v_add_f64_e64 v[58:59], v[106:107], -v[60:61]
	v_add_f64_e32 v[68:69], v[108:109], v[68:69]
	v_add_f64_e64 v[70:71], v[110:111], -v[70:71]
	v_add_f64_e64 v[60:61], v[78:79], -v[62:63]
	v_add_f64_e64 v[62:63], v[96:97], -v[64:65]
	v_add_f64_e64 v[64:65], v[98:99], -v[66:67]
	v_add_f64_e64 v[66:67], v[100:101], -v[72:73]
	v_fma_f64 v[72:73], v[104:105], 2.0, -v[56:57]
	v_fma_f64 v[74:75], v[106:107], 2.0, -v[58:59]
	;; [unrolled: 1-line block ×8, first 2 shown]
	ds_store_b128 v133, v[76:79]
	ds_store_b128 v132, v[72:75] offset:176
	ds_store_b128 v132, v[96:99] offset:64
	;; [unrolled: 1-line block ×7, first 2 shown]
	s_and_saveexec_b32 s0, vcc_lo
	s_cbranch_execz .LBB0_9
; %bb.8:
	v_mul_f64_e32 v[56:57], v[50:51], v[92:93]
	v_mul_f64_e32 v[58:59], v[54:55], v[90:91]
	;; [unrolled: 1-line block ×6, first 2 shown]
	v_fma_f64 v[56:57], v[48:49], v[94:95], -v[56:57]
	v_fma_f64 v[58:59], v[52:53], v[88:89], v[58:59]
	v_fma_f64 v[52:53], v[52:53], v[90:91], -v[54:55]
	v_fma_f64 v[54:55], v[44:45], v[82:83], -v[60:61]
	v_fma_f64 v[48:49], v[48:49], v[92:93], v[50:51]
	v_fma_f64 v[44:45], v[44:45], v[80:81], v[46:47]
	v_add_f64_e64 v[56:57], v[86:87], -v[56:57]
	s_delay_alu instid0(VALU_DEP_4) | instskip(NEXT) | instid1(VALU_DEP_4)
	v_add_f64_e64 v[50:51], v[52:53], -v[54:55]
	v_add_f64_e64 v[60:61], v[84:85], -v[48:49]
	s_delay_alu instid0(VALU_DEP_4) | instskip(NEXT) | instid1(VALU_DEP_4)
	v_add_f64_e64 v[44:45], v[58:59], -v[44:45]
	v_fma_f64 v[62:63], v[86:87], 2.0, -v[56:57]
	s_delay_alu instid0(VALU_DEP_4) | instskip(NEXT) | instid1(VALU_DEP_4)
	v_fma_f64 v[48:49], v[52:53], 2.0, -v[50:51]
	v_fma_f64 v[64:65], v[84:85], 2.0, -v[60:61]
	s_delay_alu instid0(VALU_DEP_4) | instskip(SKIP_3) | instid1(VALU_DEP_4)
	v_fma_f64 v[52:53], v[58:59], 2.0, -v[44:45]
	v_add_f64_e64 v[46:47], v[56:57], -v[44:45]
	v_add_f64_e32 v[44:45], v[60:61], v[50:51]
	v_add_f64_e64 v[50:51], v[62:63], -v[48:49]
	v_add_f64_e64 v[48:49], v[64:65], -v[52:53]
	s_delay_alu instid0(VALU_DEP_4) | instskip(NEXT) | instid1(VALU_DEP_4)
	v_fma_f64 v[54:55], v[56:57], 2.0, -v[46:47]
	v_fma_f64 v[52:53], v[60:61], 2.0, -v[44:45]
	s_delay_alu instid0(VALU_DEP_4) | instskip(NEXT) | instid1(VALU_DEP_4)
	v_fma_f64 v[58:59], v[62:63], 2.0, -v[50:51]
	v_fma_f64 v[56:57], v[64:65], 2.0, -v[48:49]
	ds_store_b128 v132, v[52:55] offset:304
	ds_store_b128 v132, v[48:51] offset:480
	;; [unrolled: 1-line block ×4, first 2 shown]
.LBB0_9:
	s_wait_alu 0xfffe
	s_or_b32 exec_lo, exec_lo, s0
	global_wb scope:SCOPE_SE
	s_wait_dscnt 0x0
	s_barrier_signal -1
	s_barrier_wait -1
	global_inv scope:SCOPE_SE
	ds_load_b128 v[44:47], v133
	ds_load_b128 v[48:51], v132 offset:64
	ds_load_b128 v[52:55], v129 offset:128
	;; [unrolled: 1-line block ×10, first 2 shown]
	v_mad_co_u64_u32 v[88:89], null, s6, v128, 0
	v_mad_co_u64_u32 v[90:91], null, s4, v131, 0
	s_mov_b32 s0, 0x745d1746
	s_mov_b32 s1, 0x3f9745d1
	s_delay_alu instid0(VALU_DEP_1)
	v_mad_co_u64_u32 v[100:101], null, s7, v128, v[89:90]
	s_wait_dscnt 0xa
	v_mul_f64_e32 v[92:93], v[2:3], v[46:47]
	v_mul_f64_e32 v[2:3], v[2:3], v[44:45]
	s_wait_dscnt 0x9
	v_mul_f64_e32 v[94:95], v[6:7], v[50:51]
	v_mul_f64_e32 v[6:7], v[6:7], v[48:49]
	;; [unrolled: 3-line block ×10, first 2 shown]
	v_mov_b32_e32 v89, v100
	s_delay_alu instid0(VALU_DEP_1)
	v_lshlrev_b64_e32 v[88:89], 4, v[88:89]
	v_mad_co_u64_u32 v[101:102], null, s5, v131, v[91:92]
	v_mul_f64_e32 v[102:103], v[18:19], v[62:63]
	v_mul_f64_e32 v[18:19], v[18:19], v[60:61]
	v_fma_f64 v[44:45], v[0:1], v[44:45], v[92:93]
	v_fma_f64 v[2:3], v[0:1], v[46:47], -v[2:3]
	v_fma_f64 v[46:47], v[4:5], v[48:49], v[94:95]
	v_fma_f64 v[6:7], v[4:5], v[50:51], -v[6:7]
	;; [unrolled: 2-line block ×8, first 2 shown]
	v_mov_b32_e32 v91, v101
	v_add_co_u32 v4, vcc_lo, s2, v88
	s_wait_alu 0xfffd
	v_add_co_ci_u32_e32 v5, vcc_lo, s3, v89, vcc_lo
	s_delay_alu instid0(VALU_DEP_3) | instskip(SKIP_1) | instid1(VALU_DEP_1)
	v_lshlrev_b64_e32 v[0:1], 4, v[90:91]
	s_lshl_b64 s[2:3], s[4:5], 6
	v_add_co_u32 v66, vcc_lo, v4, v0
	s_wait_alu 0xfffd
	s_delay_alu instid0(VALU_DEP_2) | instskip(SKIP_1) | instid1(VALU_DEP_2)
	v_add_co_ci_u32_e32 v67, vcc_lo, v5, v1, vcc_lo
	s_wait_alu 0xfffe
	v_add_co_u32 v68, vcc_lo, v66, s2
	s_wait_alu 0xfffd
	s_delay_alu instid0(VALU_DEP_2)
	v_add_co_ci_u32_e32 v69, vcc_lo, s3, v67, vcc_lo
	v_fma_f64 v[52:53], v[16:17], v[60:61], v[102:103]
	v_fma_f64 v[18:19], v[16:17], v[62:63], -v[18:19]
	v_fma_f64 v[60:61], v[36:37], v[76:77], v[110:111]
	v_fma_f64 v[36:37], v[36:37], v[78:79], -v[38:39]
	;; [unrolled: 2-line block ×3, first 2 shown]
	v_mul_f64_e32 v[0:1], s[0:1], v[44:45]
	v_mul_f64_e32 v[2:3], s[0:1], v[2:3]
	;; [unrolled: 1-line block ×6, first 2 shown]
	v_add_co_u32 v44, vcc_lo, v68, s2
	s_wait_alu 0xfffd
	v_add_co_ci_u32_e32 v45, vcc_lo, s3, v69, vcc_lo
	v_mul_f64_e32 v[12:13], s[0:1], v[50:51]
	v_mul_f64_e32 v[14:15], s[0:1], v[14:15]
	v_add_co_u32 v46, vcc_lo, v44, s2
	v_mul_f64_e32 v[20:21], s[0:1], v[54:55]
	v_mul_f64_e32 v[22:23], s[0:1], v[22:23]
	;; [unrolled: 1-line block ×6, first 2 shown]
	s_wait_alu 0xfffd
	v_add_co_ci_u32_e32 v47, vcc_lo, s3, v45, vcc_lo
	v_mul_f64_e32 v[40:41], s[0:1], v[64:65]
	v_mul_f64_e32 v[42:43], s[0:1], v[42:43]
	v_add_co_u32 v48, vcc_lo, v46, s2
	s_wait_alu 0xfffd
	v_add_co_ci_u32_e32 v49, vcc_lo, s3, v47, vcc_lo
	s_clause 0x2
	global_store_b128 v[66:67], v[0:3], off
	global_store_b128 v[68:69], v[4:7], off
	;; [unrolled: 1-line block ×3, first 2 shown]
	v_mul_f64_e32 v[16:17], s[0:1], v[52:53]
	v_mul_f64_e32 v[18:19], s[0:1], v[18:19]
	;; [unrolled: 1-line block ×6, first 2 shown]
	v_add_co_u32 v50, vcc_lo, v48, s2
	s_wait_alu 0xfffd
	v_add_co_ci_u32_e32 v51, vcc_lo, s3, v49, vcc_lo
	global_store_b128 v[46:47], v[12:15], off
	v_add_co_u32 v52, vcc_lo, v50, s2
	s_wait_alu 0xfffd
	v_add_co_ci_u32_e32 v53, vcc_lo, s3, v51, vcc_lo
	s_delay_alu instid0(VALU_DEP_2) | instskip(SKIP_1) | instid1(VALU_DEP_2)
	v_add_co_u32 v0, vcc_lo, v52, s2
	s_wait_alu 0xfffd
	v_add_co_ci_u32_e32 v1, vcc_lo, s3, v53, vcc_lo
	s_delay_alu instid0(VALU_DEP_2) | instskip(SKIP_1) | instid1(VALU_DEP_2)
	;; [unrolled: 4-line block ×4, first 2 shown]
	v_add_co_u32 v6, vcc_lo, v4, s2
	s_wait_alu 0xfffd
	v_add_co_ci_u32_e32 v7, vcc_lo, s3, v5, vcc_lo
	global_store_b128 v[48:49], v[16:19], off
	global_store_b128 v[50:51], v[20:23], off
	;; [unrolled: 1-line block ×7, first 2 shown]
.LBB0_10:
	s_nop 0
	s_sendmsg sendmsg(MSG_DEALLOC_VGPRS)
	s_endpgm
	.section	.rodata,"a",@progbits
	.p2align	6, 0x0
	.amdhsa_kernel bluestein_single_fwd_len44_dim1_dp_op_CI_CI
		.amdhsa_group_segment_fixed_size 11264
		.amdhsa_private_segment_fixed_size 0
		.amdhsa_kernarg_size 104
		.amdhsa_user_sgpr_count 2
		.amdhsa_user_sgpr_dispatch_ptr 0
		.amdhsa_user_sgpr_queue_ptr 0
		.amdhsa_user_sgpr_kernarg_segment_ptr 1
		.amdhsa_user_sgpr_dispatch_id 0
		.amdhsa_user_sgpr_private_segment_size 0
		.amdhsa_wavefront_size32 1
		.amdhsa_uses_dynamic_stack 0
		.amdhsa_enable_private_segment 0
		.amdhsa_system_sgpr_workgroup_id_x 1
		.amdhsa_system_sgpr_workgroup_id_y 0
		.amdhsa_system_sgpr_workgroup_id_z 0
		.amdhsa_system_sgpr_workgroup_info 0
		.amdhsa_system_vgpr_workitem_id 0
		.amdhsa_next_free_vgpr 235
		.amdhsa_next_free_sgpr 38
		.amdhsa_reserve_vcc 1
		.amdhsa_float_round_mode_32 0
		.amdhsa_float_round_mode_16_64 0
		.amdhsa_float_denorm_mode_32 3
		.amdhsa_float_denorm_mode_16_64 3
		.amdhsa_fp16_overflow 0
		.amdhsa_workgroup_processor_mode 1
		.amdhsa_memory_ordered 1
		.amdhsa_forward_progress 0
		.amdhsa_round_robin_scheduling 0
		.amdhsa_exception_fp_ieee_invalid_op 0
		.amdhsa_exception_fp_denorm_src 0
		.amdhsa_exception_fp_ieee_div_zero 0
		.amdhsa_exception_fp_ieee_overflow 0
		.amdhsa_exception_fp_ieee_underflow 0
		.amdhsa_exception_fp_ieee_inexact 0
		.amdhsa_exception_int_div_zero 0
	.end_amdhsa_kernel
	.text
.Lfunc_end0:
	.size	bluestein_single_fwd_len44_dim1_dp_op_CI_CI, .Lfunc_end0-bluestein_single_fwd_len44_dim1_dp_op_CI_CI
                                        ; -- End function
	.section	.AMDGPU.csdata,"",@progbits
; Kernel info:
; codeLenInByte = 9124
; NumSgprs: 40
; NumVgprs: 235
; ScratchSize: 0
; MemoryBound: 0
; FloatMode: 240
; IeeeMode: 1
; LDSByteSize: 11264 bytes/workgroup (compile time only)
; SGPRBlocks: 4
; VGPRBlocks: 29
; NumSGPRsForWavesPerEU: 40
; NumVGPRsForWavesPerEU: 235
; Occupancy: 6
; WaveLimiterHint : 1
; COMPUTE_PGM_RSRC2:SCRATCH_EN: 0
; COMPUTE_PGM_RSRC2:USER_SGPR: 2
; COMPUTE_PGM_RSRC2:TRAP_HANDLER: 0
; COMPUTE_PGM_RSRC2:TGID_X_EN: 1
; COMPUTE_PGM_RSRC2:TGID_Y_EN: 0
; COMPUTE_PGM_RSRC2:TGID_Z_EN: 0
; COMPUTE_PGM_RSRC2:TIDIG_COMP_CNT: 0
	.text
	.p2alignl 7, 3214868480
	.fill 96, 4, 3214868480
	.type	__hip_cuid_90554703e0211aa6,@object ; @__hip_cuid_90554703e0211aa6
	.section	.bss,"aw",@nobits
	.globl	__hip_cuid_90554703e0211aa6
__hip_cuid_90554703e0211aa6:
	.byte	0                               ; 0x0
	.size	__hip_cuid_90554703e0211aa6, 1

	.ident	"AMD clang version 19.0.0git (https://github.com/RadeonOpenCompute/llvm-project roc-6.4.0 25133 c7fe45cf4b819c5991fe208aaa96edf142730f1d)"
	.section	".note.GNU-stack","",@progbits
	.addrsig
	.addrsig_sym __hip_cuid_90554703e0211aa6
	.amdgpu_metadata
---
amdhsa.kernels:
  - .args:
      - .actual_access:  read_only
        .address_space:  global
        .offset:         0
        .size:           8
        .value_kind:     global_buffer
      - .actual_access:  read_only
        .address_space:  global
        .offset:         8
        .size:           8
        .value_kind:     global_buffer
      - .actual_access:  read_only
        .address_space:  global
        .offset:         16
        .size:           8
        .value_kind:     global_buffer
      - .actual_access:  read_only
        .address_space:  global
        .offset:         24
        .size:           8
        .value_kind:     global_buffer
      - .actual_access:  read_only
        .address_space:  global
        .offset:         32
        .size:           8
        .value_kind:     global_buffer
      - .offset:         40
        .size:           8
        .value_kind:     by_value
      - .address_space:  global
        .offset:         48
        .size:           8
        .value_kind:     global_buffer
      - .address_space:  global
        .offset:         56
        .size:           8
        .value_kind:     global_buffer
      - .address_space:  global
        .offset:         64
        .size:           8
        .value_kind:     global_buffer
      - .address_space:  global
        .offset:         72
        .size:           8
        .value_kind:     global_buffer
      - .offset:         80
        .size:           4
        .value_kind:     by_value
      - .address_space:  global
        .offset:         88
        .size:           8
        .value_kind:     global_buffer
      - .address_space:  global
        .offset:         96
        .size:           8
        .value_kind:     global_buffer
    .group_segment_fixed_size: 11264
    .kernarg_segment_align: 8
    .kernarg_segment_size: 104
    .language:       OpenCL C
    .language_version:
      - 2
      - 0
    .max_flat_workgroup_size: 64
    .name:           bluestein_single_fwd_len44_dim1_dp_op_CI_CI
    .private_segment_fixed_size: 0
    .sgpr_count:     40
    .sgpr_spill_count: 0
    .symbol:         bluestein_single_fwd_len44_dim1_dp_op_CI_CI.kd
    .uniform_work_group_size: 1
    .uses_dynamic_stack: false
    .vgpr_count:     235
    .vgpr_spill_count: 0
    .wavefront_size: 32
    .workgroup_processor_mode: 1
amdhsa.target:   amdgcn-amd-amdhsa--gfx1201
amdhsa.version:
  - 1
  - 2
...

	.end_amdgpu_metadata
